;; amdgpu-corpus repo=ROCm/rocFFT kind=compiled arch=gfx950 opt=O3
	.text
	.amdgcn_target "amdgcn-amd-amdhsa--gfx950"
	.amdhsa_code_object_version 6
	.protected	fft_rtc_fwd_len2500_factors_10_5_10_5_wgs_250_tpt_250_halfLds_sp_op_CI_CI_unitstride_sbrr_C2R_dirReg ; -- Begin function fft_rtc_fwd_len2500_factors_10_5_10_5_wgs_250_tpt_250_halfLds_sp_op_CI_CI_unitstride_sbrr_C2R_dirReg
	.globl	fft_rtc_fwd_len2500_factors_10_5_10_5_wgs_250_tpt_250_halfLds_sp_op_CI_CI_unitstride_sbrr_C2R_dirReg
	.p2align	8
	.type	fft_rtc_fwd_len2500_factors_10_5_10_5_wgs_250_tpt_250_halfLds_sp_op_CI_CI_unitstride_sbrr_C2R_dirReg,@function
fft_rtc_fwd_len2500_factors_10_5_10_5_wgs_250_tpt_250_halfLds_sp_op_CI_CI_unitstride_sbrr_C2R_dirReg: ; @fft_rtc_fwd_len2500_factors_10_5_10_5_wgs_250_tpt_250_halfLds_sp_op_CI_CI_unitstride_sbrr_C2R_dirReg
; %bb.0:
	s_load_dwordx4 s[4:7], s[0:1], 0x58
	s_load_dwordx4 s[8:11], s[0:1], 0x0
	;; [unrolled: 1-line block ×3, first 2 shown]
	v_mul_u32_u24_e32 v1, 0x107, v0
	v_add_u32_sdwa v10, s2, v1 dst_sel:DWORD dst_unused:UNUSED_PAD src0_sel:DWORD src1_sel:WORD_1
	v_mov_b32_e32 v6, 0
	s_waitcnt lgkmcnt(0)
	v_cmp_lt_u64_e64 s[2:3], s[10:11], 2
	v_mov_b32_e32 v11, v6
	s_and_b64 vcc, exec, s[2:3]
	v_mov_b64_e32 v[8:9], 0
	s_cbranch_vccnz .LBB0_8
; %bb.1:
	s_load_dwordx2 s[2:3], s[0:1], 0x10
	s_add_u32 s16, s14, 8
	s_addc_u32 s17, s15, 0
	s_add_u32 s18, s12, 8
	s_addc_u32 s19, s13, 0
	s_waitcnt lgkmcnt(0)
	s_add_u32 s20, s2, 8
	v_mov_b64_e32 v[8:9], 0
	s_addc_u32 s21, s3, 0
	s_mov_b64 s[22:23], 1
	v_mov_b64_e32 v[2:3], v[8:9]
.LBB0_2:                                ; =>This Inner Loop Header: Depth=1
	s_load_dwordx2 s[24:25], s[20:21], 0x0
                                        ; implicit-def: $vgpr4_vgpr5
	s_waitcnt lgkmcnt(0)
	v_or_b32_e32 v7, s25, v11
	v_cmp_ne_u64_e32 vcc, 0, v[6:7]
	s_and_saveexec_b64 s[2:3], vcc
	s_xor_b64 s[26:27], exec, s[2:3]
	s_cbranch_execz .LBB0_4
; %bb.3:                                ;   in Loop: Header=BB0_2 Depth=1
	v_cvt_f32_u32_e32 v1, s24
	v_cvt_f32_u32_e32 v4, s25
	s_sub_u32 s2, 0, s24
	s_subb_u32 s3, 0, s25
	v_fmac_f32_e32 v1, 0x4f800000, v4
	v_rcp_f32_e32 v1, v1
	s_nop 0
	v_mul_f32_e32 v1, 0x5f7ffffc, v1
	v_mul_f32_e32 v4, 0x2f800000, v1
	v_trunc_f32_e32 v4, v4
	v_fmac_f32_e32 v1, 0xcf800000, v4
	v_cvt_u32_f32_e32 v7, v4
	v_cvt_u32_f32_e32 v1, v1
	v_mul_lo_u32 v4, s2, v7
	v_mul_hi_u32 v12, s2, v1
	v_mul_lo_u32 v5, s3, v1
	v_add_u32_e32 v12, v12, v4
	v_mul_lo_u32 v14, s2, v1
	v_add_u32_e32 v15, v12, v5
	v_mul_hi_u32 v4, v1, v14
	v_mul_hi_u32 v13, v1, v15
	v_mul_lo_u32 v12, v1, v15
	v_mov_b32_e32 v5, v6
	v_lshl_add_u64 v[4:5], v[4:5], 0, v[12:13]
	v_mul_hi_u32 v13, v7, v14
	v_mul_lo_u32 v14, v7, v14
	v_add_co_u32_e32 v4, vcc, v4, v14
	v_mul_hi_u32 v12, v7, v15
	s_nop 0
	v_addc_co_u32_e32 v4, vcc, v5, v13, vcc
	v_mov_b32_e32 v5, v6
	s_nop 0
	v_addc_co_u32_e32 v13, vcc, 0, v12, vcc
	v_mul_lo_u32 v12, v7, v15
	v_lshl_add_u64 v[4:5], v[4:5], 0, v[12:13]
	v_add_co_u32_e32 v1, vcc, v1, v4
	v_mul_lo_u32 v12, s2, v1
	s_nop 0
	v_addc_co_u32_e32 v7, vcc, v7, v5, vcc
	v_mul_lo_u32 v4, s2, v7
	v_mul_hi_u32 v5, s2, v1
	v_add_u32_e32 v4, v5, v4
	v_mul_lo_u32 v5, s3, v1
	v_add_u32_e32 v14, v4, v5
	v_mul_hi_u32 v16, v7, v12
	v_mul_lo_u32 v17, v7, v12
	v_mul_hi_u32 v5, v1, v14
	v_mul_lo_u32 v4, v1, v14
	v_mul_hi_u32 v12, v1, v12
	v_mov_b32_e32 v13, v6
	v_lshl_add_u64 v[4:5], v[12:13], 0, v[4:5]
	v_add_co_u32_e32 v4, vcc, v4, v17
	v_mul_hi_u32 v15, v7, v14
	s_nop 0
	v_addc_co_u32_e32 v4, vcc, v5, v16, vcc
	v_mul_lo_u32 v12, v7, v14
	s_nop 0
	v_addc_co_u32_e32 v13, vcc, 0, v15, vcc
	v_mov_b32_e32 v5, v6
	v_lshl_add_u64 v[4:5], v[4:5], 0, v[12:13]
	v_add_co_u32_e32 v1, vcc, v1, v4
	v_mul_hi_u32 v12, v10, v1
	s_nop 0
	v_addc_co_u32_e32 v7, vcc, v7, v5, vcc
	v_mad_u64_u32 v[4:5], s[2:3], v10, v7, 0
	v_mov_b32_e32 v13, v6
	v_lshl_add_u64 v[4:5], v[12:13], 0, v[4:5]
	v_mad_u64_u32 v[14:15], s[2:3], v11, v1, 0
	v_add_co_u32_e32 v1, vcc, v4, v14
	v_mad_u64_u32 v[12:13], s[2:3], v11, v7, 0
	s_nop 0
	v_addc_co_u32_e32 v4, vcc, v5, v15, vcc
	v_mov_b32_e32 v5, v6
	s_nop 0
	v_addc_co_u32_e32 v13, vcc, 0, v13, vcc
	v_lshl_add_u64 v[4:5], v[4:5], 0, v[12:13]
	v_mul_lo_u32 v1, s25, v4
	v_mul_lo_u32 v7, s24, v5
	v_mad_u64_u32 v[12:13], s[2:3], s24, v4, 0
	v_add3_u32 v1, v13, v7, v1
	v_sub_u32_e32 v7, v11, v1
	v_mov_b32_e32 v13, s25
	v_sub_co_u32_e32 v16, vcc, v10, v12
	v_lshl_add_u64 v[14:15], v[4:5], 0, 1
	s_nop 0
	v_subb_co_u32_e64 v7, s[2:3], v7, v13, vcc
	v_subrev_co_u32_e64 v12, s[2:3], s24, v16
	v_subb_co_u32_e32 v1, vcc, v11, v1, vcc
	s_nop 0
	v_subbrev_co_u32_e64 v7, s[2:3], 0, v7, s[2:3]
	v_cmp_le_u32_e64 s[2:3], s25, v7
	v_cmp_le_u32_e32 vcc, s25, v1
	s_nop 0
	v_cndmask_b32_e64 v13, 0, -1, s[2:3]
	v_cmp_le_u32_e64 s[2:3], s24, v12
	s_nop 1
	v_cndmask_b32_e64 v12, 0, -1, s[2:3]
	v_cmp_eq_u32_e64 s[2:3], s25, v7
	s_nop 1
	v_cndmask_b32_e64 v7, v13, v12, s[2:3]
	v_lshl_add_u64 v[12:13], v[4:5], 0, 2
	v_cmp_ne_u32_e64 s[2:3], 0, v7
	s_nop 1
	v_cndmask_b32_e64 v7, v15, v13, s[2:3]
	v_cndmask_b32_e64 v13, 0, -1, vcc
	v_cmp_le_u32_e32 vcc, s24, v16
	s_nop 1
	v_cndmask_b32_e64 v15, 0, -1, vcc
	v_cmp_eq_u32_e32 vcc, s25, v1
	s_nop 1
	v_cndmask_b32_e32 v1, v13, v15, vcc
	v_cmp_ne_u32_e32 vcc, 0, v1
	v_cndmask_b32_e64 v1, v14, v12, s[2:3]
	s_nop 0
	v_cndmask_b32_e32 v5, v5, v7, vcc
	v_cndmask_b32_e32 v4, v4, v1, vcc
.LBB0_4:                                ;   in Loop: Header=BB0_2 Depth=1
	s_andn2_saveexec_b64 s[2:3], s[26:27]
	s_cbranch_execz .LBB0_6
; %bb.5:                                ;   in Loop: Header=BB0_2 Depth=1
	v_cvt_f32_u32_e32 v1, s24
	s_sub_i32 s26, 0, s24
	v_rcp_iflag_f32_e32 v1, v1
	s_nop 0
	v_mul_f32_e32 v1, 0x4f7ffffe, v1
	v_cvt_u32_f32_e32 v1, v1
	v_mul_lo_u32 v4, s26, v1
	v_mul_hi_u32 v4, v1, v4
	v_add_u32_e32 v1, v1, v4
	v_mul_hi_u32 v1, v10, v1
	v_mul_lo_u32 v4, v1, s24
	v_sub_u32_e32 v4, v10, v4
	v_add_u32_e32 v5, 1, v1
	v_subrev_u32_e32 v7, s24, v4
	v_cmp_le_u32_e32 vcc, s24, v4
	s_nop 1
	v_cndmask_b32_e32 v4, v4, v7, vcc
	v_cndmask_b32_e32 v1, v1, v5, vcc
	v_add_u32_e32 v5, 1, v1
	v_cmp_le_u32_e32 vcc, s24, v4
	s_nop 1
	v_cndmask_b32_e32 v4, v1, v5, vcc
	v_mov_b32_e32 v5, v6
.LBB0_6:                                ;   in Loop: Header=BB0_2 Depth=1
	s_or_b64 exec, exec, s[2:3]
	v_mad_u64_u32 v[12:13], s[2:3], v4, s24, 0
	s_load_dwordx2 s[2:3], s[18:19], 0x0
	v_mul_lo_u32 v1, v5, s24
	v_mul_lo_u32 v7, v4, s25
	s_load_dwordx2 s[24:25], s[16:17], 0x0
	s_add_u32 s22, s22, 1
	v_add3_u32 v1, v13, v7, v1
	v_sub_co_u32_e32 v7, vcc, v10, v12
	s_addc_u32 s23, s23, 0
	s_nop 0
	v_subb_co_u32_e32 v1, vcc, v11, v1, vcc
	s_add_u32 s16, s16, 8
	s_waitcnt lgkmcnt(0)
	v_mul_lo_u32 v10, s2, v1
	v_mul_lo_u32 v11, s3, v7
	v_mad_u64_u32 v[8:9], s[2:3], s2, v7, v[8:9]
	s_addc_u32 s17, s17, 0
	v_add3_u32 v9, v11, v9, v10
	v_mul_lo_u32 v1, s24, v1
	v_mul_lo_u32 v10, s25, v7
	v_mad_u64_u32 v[2:3], s[2:3], s24, v7, v[2:3]
	s_add_u32 s18, s18, 8
	v_add3_u32 v3, v10, v3, v1
	s_addc_u32 s19, s19, 0
	v_mov_b64_e32 v[10:11], s[10:11]
	s_add_u32 s20, s20, 8
	v_cmp_ge_u64_e32 vcc, s[22:23], v[10:11]
	s_addc_u32 s21, s21, 0
	s_cbranch_vccnz .LBB0_9
; %bb.7:                                ;   in Loop: Header=BB0_2 Depth=1
	v_mov_b64_e32 v[10:11], v[4:5]
	s_branch .LBB0_2
.LBB0_8:
	v_mov_b64_e32 v[2:3], v[8:9]
	v_mov_b64_e32 v[4:5], v[10:11]
.LBB0_9:
	s_load_dwordx2 s[18:19], s[0:1], 0x28
	s_lshl_b64 s[16:17], s[10:11], 3
	s_add_u32 s2, s14, s16
	s_addc_u32 s3, s15, s17
                                        ; implicit-def: $vgpr6
	s_waitcnt lgkmcnt(0)
	v_cmp_gt_u64_e64 s[0:1], s[18:19], v[4:5]
	v_cmp_le_u64_e32 vcc, s[18:19], v[4:5]
	s_and_saveexec_b64 s[10:11], vcc
	s_xor_b64 s[10:11], exec, s[10:11]
; %bb.10:
	s_mov_b32 s14, 0x10624de
	v_mul_hi_u32 v1, v0, s14
	v_mul_u32_u24_e32 v1, 0xfa, v1
	v_sub_u32_e32 v6, v0, v1
                                        ; implicit-def: $vgpr0
                                        ; implicit-def: $vgpr8_vgpr9
; %bb.11:
	s_or_saveexec_b64 s[10:11], s[10:11]
	s_load_dwordx2 s[2:3], s[2:3], 0x0
	s_xor_b64 exec, exec, s[10:11]
	s_cbranch_execz .LBB0_15
; %bb.12:
	s_add_u32 s12, s12, s16
	s_addc_u32 s13, s13, s17
	s_load_dwordx2 s[12:13], s[12:13], 0x0
	s_mov_b32 s14, 0x10624de
	s_waitcnt lgkmcnt(0)
	v_mul_lo_u32 v1, s13, v4
	v_mul_lo_u32 v6, s12, v5
	v_mad_u64_u32 v[10:11], s[12:13], s12, v4, 0
	v_add3_u32 v11, v11, v6, v1
	v_mul_hi_u32 v1, v0, s14
	v_mul_u32_u24_e32 v1, 0xfa, v1
	v_sub_u32_e32 v6, v0, v1
	v_lshl_add_u64 v[0:1], v[10:11], 3, s[4:5]
	v_lshl_add_u64 v[8:9], v[8:9], 3, v[0:1]
	v_lshlrev_b32_e32 v0, 3, v6
	v_mov_b32_e32 v1, 0
	v_lshl_add_u64 v[10:11], v[8:9], 0, v[0:1]
	s_movk_i32 s4, 0x1000
	v_add_co_u32_e32 v12, vcc, s4, v10
	s_movk_i32 s4, 0x2000
	s_nop 0
	v_addc_co_u32_e32 v13, vcc, 0, v11, vcc
	v_add_co_u32_e32 v22, vcc, s4, v10
	s_movk_i32 s4, 0x3000
	s_nop 0
	v_addc_co_u32_e32 v23, vcc, 0, v11, vcc
	v_add_co_u32_e32 v24, vcc, s4, v10
	global_load_dwordx2 v[14:15], v[10:11], off
	global_load_dwordx2 v[16:17], v[10:11], off offset:2000
	global_load_dwordx2 v[18:19], v[10:11], off offset:4000
	;; [unrolled: 1-line block ×3, first 2 shown]
	v_addc_co_u32_e32 v25, vcc, 0, v11, vcc
	v_add_co_u32_e32 v10, vcc, 0x4000, v10
	global_load_dwordx2 v[26:27], v[12:13], off offset:3904
	global_load_dwordx2 v[28:29], v[22:23], off offset:1808
	global_load_dwordx2 v[30:31], v[22:23], off offset:3808
	global_load_dwordx2 v[32:33], v[24:25], off offset:1712
	v_addc_co_u32_e32 v11, vcc, 0, v11, vcc
	global_load_dwordx2 v[12:13], v[24:25], off offset:3712
	global_load_dwordx2 v[22:23], v[10:11], off offset:1616
	s_movk_i32 s4, 0xf9
	v_add_u32_e32 v0, 0, v0
	v_cmp_eq_u32_e32 vcc, s4, v6
	v_add_u32_e32 v7, 0xf80, v0
	v_add_u32_e32 v10, 0x1f40, v0
	;; [unrolled: 1-line block ×4, first 2 shown]
	s_waitcnt vmcnt(8)
	ds_write2_b64 v0, v[14:15], v[16:17] offset1:250
	s_waitcnt vmcnt(6)
	ds_write2_b64 v7, v[18:19], v[20:21] offset0:4 offset1:254
	s_waitcnt vmcnt(4)
	ds_write2_b64 v10, v[26:27], v[28:29] offset1:250
	s_waitcnt vmcnt(2)
	ds_write2_b64 v11, v[30:31], v[32:33] offset0:4 offset1:254
	s_waitcnt vmcnt(0)
	ds_write2_b64 v24, v[12:13], v[22:23] offset1:250
	s_and_saveexec_b64 s[4:5], vcc
	s_cbranch_execz .LBB0_14
; %bb.13:
	v_add_co_u32_e32 v6, vcc, 0x4000, v8
	s_nop 1
	v_addc_co_u32_e32 v7, vcc, 0, v9, vcc
	global_load_dwordx2 v[6:7], v[6:7], off offset:3616
	s_waitcnt vmcnt(0)
	ds_write_b64 v1, v[6:7] offset:20000
	v_mov_b32_e32 v6, 0xf9
.LBB0_14:
	s_or_b64 exec, exec, s[4:5]
.LBB0_15:
	s_or_b64 exec, exec, s[10:11]
	v_lshlrev_b32_e32 v0, 3, v6
	v_add_u32_e32 v10, 0, v0
	s_waitcnt lgkmcnt(0)
	s_barrier
	v_sub_u32_e32 v13, 0, v0
	ds_read_b32 v1, v10
	ds_read_b32 v7, v13 offset:20000
	s_add_u32 s4, s8, 0x4dd0
	s_addc_u32 s5, s9, 0
	v_cmp_ne_u32_e32 vcc, 0, v6
                                        ; implicit-def: $vgpr8_vgpr9
	s_waitcnt lgkmcnt(0)
	v_add_f32_e32 v0, v7, v1
	v_sub_f32_e32 v1, v1, v7
	s_and_saveexec_b64 s[10:11], vcc
	s_xor_b64 s[10:11], exec, s[10:11]
	s_cbranch_execz .LBB0_17
; %bb.16:
	v_mov_b32_e32 v7, 0
	v_lshl_add_u64 v[8:9], v[6:7], 3, s[4:5]
	global_load_dwordx2 v[14:15], v[8:9], off
	ds_read_b32 v11, v13 offset:20004
	ds_read_b32 v12, v10 offset:4
	v_mov_b32_e32 v16, v1
	v_mov_b32_e32 v18, v0
	;; [unrolled: 1-line block ×3, first 2 shown]
	v_mov_b64_e32 v[8:9], v[6:7]
	s_waitcnt lgkmcnt(0)
	v_add_f32_e32 v17, v11, v12
	v_sub_f32_e32 v19, v12, v11
	v_mov_b32_e32 v20, v17
	s_waitcnt vmcnt(0)
	v_pk_mul_f32 v[22:23], v[16:17], v[14:15] op_sel:[0,1]
	v_pk_fma_f32 v[16:17], v[16:17], v[14:15], v[18:19] op_sel:[0,1,0]
	v_mov_b32_e32 v1, v23
	v_mov_b32_e32 v23, v19
	v_pk_fma_f32 v[24:25], v[14:15], v[20:21], v[16:17] neg_lo:[1,0,0] neg_hi:[1,0,0]
	v_pk_fma_f32 v[16:17], v[14:15], v[20:21], v[16:17] op_sel_hi:[0,1,1]
	v_pk_add_f32 v[0:1], v[0:1], v[22:23] neg_lo:[0,1] neg_hi:[0,1]
	v_mov_b32_e32 v25, v17
	v_pk_fma_f32 v[0:1], v[14:15], v[20:21], v[0:1] op_sel_hi:[0,1,1]
	ds_write_b64 v13, v[0:1] offset:20000
	v_mov_b64_e32 v[0:1], v[24:25]
.LBB0_17:
	s_andn2_saveexec_b64 s[10:11], s[10:11]
	s_cbranch_execz .LBB0_19
; %bb.18:
	v_mov_b32_e32 v7, 0
	ds_read_b64 v[8:9], v7 offset:10000
	s_mov_b32 s12, 2.0
	s_mov_b32 s13, -2.0
	s_waitcnt lgkmcnt(0)
	v_pk_mul_f32 v[8:9], v[8:9], s[12:13]
	ds_write_b64 v7, v[8:9] offset:10000
	v_mov_b64_e32 v[8:9], 0
.LBB0_19:
	s_or_b64 exec, exec, s[10:11]
	v_lshl_add_u64 v[8:9], v[8:9], 3, s[4:5]
	global_load_dwordx2 v[14:15], v[8:9], off offset:2000
	global_load_dwordx2 v[16:17], v[8:9], off offset:4000
	s_movk_i32 s4, 0x1000
	v_add_co_u32_e32 v8, vcc, s4, v8
	ds_write_b64 v10, v[0:1]
	s_nop 0
	v_addc_co_u32_e32 v9, vcc, 0, v9, vcc
	global_load_dwordx2 v[18:19], v[8:9], off offset:1904
	ds_read_b64 v[0:1], v13 offset:18000
	ds_read_b64 v[20:21], v10 offset:2000
	global_load_dwordx2 v[22:23], v[8:9], off offset:3904
	v_add_u32_e32 v7, 0x1f40, v10
	v_add_u32_e32 v11, 0x2ec0, v10
	s_movk_i32 s5, 0x48
	s_waitcnt lgkmcnt(0)
	v_pk_add_f32 v[8:9], v[20:21], v[0:1] neg_lo:[0,1] neg_hi:[0,1]
	v_pk_add_f32 v[0:1], v[20:21], v[0:1]
	v_mov_b32_e32 v20, v8
	v_mov_b32_e32 v21, v1
	;; [unrolled: 1-line block ×6, first 2 shown]
	s_mov_b32 s4, 0x3f737871
	s_mov_b32 s10, 0x3f167918
	;; [unrolled: 1-line block ×8, first 2 shown]
	v_add_u32_e32 v12, 0xfa, v6
	s_waitcnt vmcnt(3)
	v_pk_mul_f32 v[28:29], v[20:21], v[14:15] op_sel:[0,1]
	v_pk_fma_f32 v[20:21], v[20:21], v[14:15], v[24:25] op_sel:[0,1,0]
	v_mov_b32_e32 v1, v29
	v_mov_b32_e32 v29, v9
	v_pk_fma_f32 v[24:25], v[14:15], v[26:27], v[20:21] neg_lo:[1,0,0] neg_hi:[1,0,0]
	v_pk_fma_f32 v[20:21], v[14:15], v[26:27], v[20:21] op_sel_hi:[0,1,1]
	v_pk_add_f32 v[0:1], v[0:1], v[28:29] neg_lo:[0,1] neg_hi:[0,1]
	v_mov_b32_e32 v25, v21
	v_pk_fma_f32 v[0:1], v[14:15], v[26:27], v[0:1] op_sel_hi:[0,1,1]
	ds_write_b64 v10, v[24:25] offset:2000
	ds_write_b64 v13, v[0:1] offset:18000
	ds_read_b64 v[0:1], v13 offset:16000
	ds_read_b64 v[8:9], v10 offset:4000
	s_waitcnt lgkmcnt(0)
	v_pk_add_f32 v[14:15], v[8:9], v[0:1] neg_lo:[0,1] neg_hi:[0,1]
	v_pk_add_f32 v[0:1], v[8:9], v[0:1]
	v_mov_b32_e32 v8, v14
	v_mov_b32_e32 v9, v1
	;; [unrolled: 1-line block ×4, first 2 shown]
	s_waitcnt vmcnt(2)
	v_pk_mul_f32 v[26:27], v[8:9], v[16:17] op_sel:[0,1]
	v_mov_b32_e32 v24, v1
	v_mov_b32_e32 v25, v14
	v_pk_fma_f32 v[8:9], v[8:9], v[16:17], v[20:21] op_sel:[0,1,0]
	v_mov_b32_e32 v1, v27
	v_mov_b32_e32 v27, v15
	v_pk_fma_f32 v[20:21], v[16:17], v[24:25], v[8:9] neg_lo:[1,0,0] neg_hi:[1,0,0]
	v_pk_fma_f32 v[8:9], v[16:17], v[24:25], v[8:9] op_sel_hi:[0,1,1]
	v_pk_add_f32 v[0:1], v[0:1], v[26:27] neg_lo:[0,1] neg_hi:[0,1]
	v_mov_b32_e32 v21, v9
	v_pk_fma_f32 v[0:1], v[16:17], v[24:25], v[0:1] op_sel_hi:[0,1,1]
	ds_write_b64 v10, v[20:21] offset:4000
	ds_write_b64 v13, v[0:1] offset:16000
	ds_read_b64 v[0:1], v13 offset:14000
	ds_read_b64 v[14:15], v10 offset:6000
	v_add_u32_e32 v8, 0xf80, v10
	v_add_u32_e32 v9, 0x3e80, v10
	s_waitcnt lgkmcnt(0)
	v_pk_add_f32 v[16:17], v[14:15], v[0:1] neg_lo:[0,1] neg_hi:[0,1]
	v_pk_add_f32 v[0:1], v[14:15], v[0:1]
	v_mov_b32_e32 v14, v16
	v_mov_b32_e32 v15, v1
	;; [unrolled: 1-line block ×4, first 2 shown]
	s_waitcnt vmcnt(1)
	v_pk_mul_f32 v[26:27], v[14:15], v[18:19] op_sel:[0,1]
	v_mov_b32_e32 v24, v1
	v_mov_b32_e32 v25, v16
	v_pk_fma_f32 v[14:15], v[14:15], v[18:19], v[20:21] op_sel:[0,1,0]
	v_mov_b32_e32 v1, v27
	v_mov_b32_e32 v27, v17
	v_pk_fma_f32 v[20:21], v[18:19], v[24:25], v[14:15] neg_lo:[1,0,0] neg_hi:[1,0,0]
	v_pk_fma_f32 v[14:15], v[18:19], v[24:25], v[14:15] op_sel_hi:[0,1,1]
	v_pk_add_f32 v[0:1], v[0:1], v[26:27] neg_lo:[0,1] neg_hi:[0,1]
	v_mov_b32_e32 v21, v15
	v_pk_fma_f32 v[0:1], v[18:19], v[24:25], v[0:1] op_sel_hi:[0,1,1]
	ds_write_b64 v10, v[20:21] offset:6000
	ds_write_b64 v13, v[0:1] offset:14000
	ds_read_b64 v[0:1], v13 offset:12000
	ds_read_b64 v[14:15], v10 offset:8000
	s_waitcnt lgkmcnt(0)
	v_pk_add_f32 v[16:17], v[14:15], v[0:1] neg_lo:[0,1] neg_hi:[0,1]
	v_pk_add_f32 v[0:1], v[14:15], v[0:1]
	v_mov_b32_e32 v14, v16
	v_mov_b32_e32 v15, v1
	;; [unrolled: 1-line block ×4, first 2 shown]
	s_waitcnt vmcnt(0)
	v_pk_mul_f32 v[24:25], v[14:15], v[22:23] op_sel:[0,1]
	v_mov_b32_e32 v20, v1
	v_mov_b32_e32 v21, v16
	v_pk_fma_f32 v[14:15], v[14:15], v[22:23], v[18:19] op_sel:[0,1,0]
	v_mov_b32_e32 v1, v25
	v_mov_b32_e32 v25, v17
	v_pk_fma_f32 v[18:19], v[22:23], v[20:21], v[14:15] neg_lo:[1,0,0] neg_hi:[1,0,0]
	v_pk_fma_f32 v[14:15], v[22:23], v[20:21], v[14:15] op_sel_hi:[0,1,1]
	v_pk_add_f32 v[0:1], v[0:1], v[24:25] neg_lo:[0,1] neg_hi:[0,1]
	v_mov_b32_e32 v19, v15
	v_pk_fma_f32 v[0:1], v[22:23], v[20:21], v[0:1] op_sel_hi:[0,1,1]
	ds_write_b64 v10, v[18:19] offset:8000
	ds_write_b64 v13, v[0:1] offset:12000
	s_waitcnt lgkmcnt(0)
	s_barrier
	s_barrier
	ds_read2_b64 v[14:17], v10 offset1:250
	ds_read2_b64 v[18:21], v8 offset0:4 offset1:254
	ds_read2_b64 v[22:25], v7 offset1:250
	ds_read2_b64 v[26:29], v11 offset0:4 offset1:254
	ds_read2_b64 v[30:33], v9 offset1:250
	v_mad_u32_u24 v13, v6, s5, v10
	s_waitcnt lgkmcnt(3)
	v_pk_add_f32 v[0:1], v[14:15], v[18:19]
	s_waitcnt lgkmcnt(2)
	v_pk_add_f32 v[40:41], v[18:19], v[22:23] neg_lo:[0,1] neg_hi:[0,1]
	s_waitcnt lgkmcnt(1)
	v_pk_add_f32 v[34:35], v[22:23], v[26:27]
	s_waitcnt lgkmcnt(0)
	v_pk_add_f32 v[36:37], v[18:19], v[30:31] neg_lo:[0,1] neg_hi:[0,1]
	v_pk_add_f32 v[38:39], v[22:23], v[26:27] neg_lo:[0,1] neg_hi:[0,1]
	;; [unrolled: 1-line block ×3, first 2 shown]
	v_pk_fma_f32 v[34:35], v[34:35], 0.5, v[14:15] op_sel_hi:[1,0,1] neg_lo:[1,0,0] neg_hi:[1,0,0]
	v_pk_mul_f32 v[44:45], v[36:37], s[4:5] op_sel_hi:[1,0]
	v_pk_add_f32 v[0:1], v[0:1], v[22:23]
	v_pk_mul_f32 v[46:47], v[38:39], s[10:11] op_sel_hi:[1,0]
	v_pk_add_f32 v[40:41], v[40:41], v[42:43]
	v_pk_add_f32 v[42:43], v[34:35], v[44:45] op_sel:[0,1] op_sel_hi:[1,0]
	v_pk_add_f32 v[34:35], v[34:35], v[44:45] op_sel:[0,1] op_sel_hi:[1,0] neg_lo:[0,1] neg_hi:[0,1]
	v_pk_add_f32 v[0:1], v[0:1], v[26:27]
	v_pk_add_f32 v[34:35], v[34:35], v[46:47] op_sel:[0,1] op_sel_hi:[1,0] neg_lo:[0,1] neg_hi:[0,1]
	v_pk_add_f32 v[42:43], v[42:43], v[46:47] op_sel:[0,1] op_sel_hi:[1,0]
	v_pk_add_f32 v[22:23], v[22:23], v[18:19] neg_lo:[0,1] neg_hi:[0,1]
	v_pk_add_f32 v[26:27], v[26:27], v[30:31] neg_lo:[0,1] neg_hi:[0,1]
	;; [unrolled: 1-line block ×3, first 2 shown]
	v_pk_add_f32 v[46:47], v[20:21], v[32:33]
	v_pk_add_f32 v[22:23], v[22:23], v[26:27]
	v_pk_add_f32 v[26:27], v[20:21], v[32:33] neg_lo:[0,1] neg_hi:[0,1]
	v_pk_fma_f32 v[46:47], v[46:47], 0.5, v[16:17] op_sel_hi:[1,0,1] neg_lo:[1,0,0] neg_hi:[1,0,0]
	v_pk_mul_f32 v[48:49], v[44:45], s[4:5] op_sel_hi:[1,0]
	v_pk_add_f32 v[52:53], v[24:25], v[20:21] neg_lo:[0,1] neg_hi:[0,1]
	v_pk_add_f32 v[54:55], v[28:29], v[32:33] neg_lo:[0,1] neg_hi:[0,1]
	v_pk_mul_f32 v[50:51], v[26:27], s[10:11] op_sel_hi:[1,0]
	v_pk_add_f32 v[52:53], v[52:53], v[54:55]
	v_pk_add_f32 v[54:55], v[46:47], v[48:49] op_sel:[0,1] op_sel_hi:[1,0] neg_lo:[0,1] neg_hi:[0,1]
	v_pk_add_f32 v[46:47], v[46:47], v[48:49] op_sel:[0,1] op_sel_hi:[1,0]
	v_pk_add_f32 v[48:49], v[54:55], v[50:51] op_sel:[0,1] op_sel_hi:[1,0]
	v_pk_add_f32 v[46:47], v[46:47], v[50:51] op_sel:[0,1] op_sel_hi:[1,0] neg_lo:[0,1] neg_hi:[0,1]
	v_pk_add_f32 v[18:19], v[18:19], v[30:31]
	v_mov_b32_e32 v50, v48
	v_mov_b32_e32 v51, v47
	v_pk_fma_f32 v[14:15], v[18:19], 0.5, v[14:15] op_sel_hi:[1,0,1] neg_lo:[1,0,0] neg_hi:[1,0,0]
	v_pk_mul_f32 v[18:19], v[38:39], s[4:5] op_sel_hi:[1,0]
	v_mov_b32_e32 v47, v49
	v_pk_add_f32 v[0:1], v[0:1], v[30:31]
	v_pk_fma_f32 v[50:51], v[52:53], s[12:13], v[50:51] op_sel_hi:[1,0,1]
	v_pk_add_f32 v[30:31], v[14:15], v[18:19] op_sel:[0,1] op_sel_hi:[1,0] neg_lo:[0,1] neg_hi:[0,1]
	v_pk_add_f32 v[14:15], v[14:15], v[18:19] op_sel:[0,1] op_sel_hi:[1,0]
	v_pk_mul_f32 v[36:37], v[36:37], s[10:11] op_sel_hi:[1,0]
	v_pk_fma_f32 v[46:47], v[52:53], s[12:13], v[46:47] op_sel_hi:[1,0,1]
	v_pk_mul_f32 v[54:55], v[50:51], s[4:5] op_sel_hi:[1,0]
	v_pk_add_f32 v[14:15], v[14:15], v[36:37] op_sel:[0,1] op_sel_hi:[1,0] neg_lo:[0,1] neg_hi:[0,1]
	v_pk_add_f32 v[30:31], v[30:31], v[36:37] op_sel:[0,1] op_sel_hi:[1,0]
	v_pk_mul_f32 v[48:49], v[46:47], s[12:13] op_sel_hi:[1,0]
	v_pk_fma_f32 v[56:57], v[50:51], s[12:13], v[54:55] op_sel:[0,0,1] op_sel_hi:[1,0,0]
	v_pk_fma_f32 v[50:51], v[50:51], s[12:13], v[54:55] op_sel:[0,0,1] op_sel_hi:[1,0,0] neg_lo:[0,0,1] neg_hi:[0,0,1]
	v_pk_fma_f32 v[46:47], v[46:47], s[14:15], v[48:49] op_sel:[0,0,1] op_sel_hi:[1,1,0] neg_lo:[0,0,1] neg_hi:[0,0,1]
	v_mov_b32_e32 v48, v30
	v_mov_b32_e32 v49, v15
	;; [unrolled: 1-line block ×4, first 2 shown]
	v_pk_fma_f32 v[48:49], v[22:23], s[12:13], v[48:49] op_sel_hi:[1,0,1]
	v_pk_fma_f32 v[14:15], v[22:23], s[12:13], v[14:15] op_sel_hi:[1,0,1]
	v_pk_add_f32 v[30:31], v[48:49], v[56:57]
	v_pk_add_f32 v[22:23], v[14:15], v[46:47] op_sel:[0,1] op_sel_hi:[1,0]
	v_pk_add_f32 v[18:19], v[16:17], v[20:21]
	s_barrier
	ds_write2_b64 v13, v[30:31], v[22:23] offset0:2 offset1:3
	v_pk_add_f32 v[22:23], v[24:25], v[28:29]
	v_pk_add_f32 v[18:19], v[18:19], v[24:25]
	v_pk_fma_f32 v[16:17], v[22:23], 0.5, v[16:17] op_sel_hi:[1,0,1] neg_lo:[1,0,0] neg_hi:[1,0,0]
	v_pk_add_f32 v[20:21], v[20:21], v[24:25] neg_lo:[0,1] neg_hi:[0,1]
	v_pk_mul_f32 v[24:25], v[26:27], s[4:5] op_sel_hi:[1,0]
	v_pk_add_f32 v[18:19], v[18:19], v[28:29]
	v_pk_add_f32 v[22:23], v[32:33], v[28:29] neg_lo:[0,1] neg_hi:[0,1]
	v_pk_add_f32 v[26:27], v[16:17], v[24:25] op_sel:[0,1] op_sel_hi:[1,0]
	v_pk_mul_f32 v[28:29], v[44:45], s[10:11] op_sel_hi:[1,0]
	v_pk_add_f32 v[16:17], v[16:17], v[24:25] op_sel:[0,1] op_sel_hi:[1,0] neg_lo:[0,1] neg_hi:[0,1]
	v_pk_add_f32 v[20:21], v[20:21], v[22:23]
	v_pk_add_f32 v[26:27], v[28:29], v[26:27] op_sel:[1,0] op_sel_hi:[0,1]
	v_pk_add_f32 v[16:17], v[16:17], v[28:29] op_sel:[0,1] op_sel_hi:[1,0] neg_lo:[0,1] neg_hi:[0,1]
	v_mov_b32_e32 v39, v35
	v_pk_fma_f32 v[24:25], v[20:21], s[12:13], v[16:17] op_sel_hi:[1,0,1]
	v_mov_b32_e32 v17, v27
	v_pk_fma_f32 v[16:17], v[20:21], s[12:13], v[16:17] op_sel_hi:[1,0,1]
	;; [unrolled: 2-line block ×3, first 2 shown]
	v_pk_mul_f32 v[20:21], v[16:17], s[18:19] op_sel_hi:[1,0]
	s_mov_b32 s19, s10
	v_pk_fma_f32 v[22:23], v[40:41], s[12:13], v[34:35] op_sel_hi:[1,0,1]
	v_pk_fma_f32 v[16:17], v[16:17], s[16:17], v[20:21] op_sel:[0,0,1] op_sel_hi:[1,1,0] neg_lo:[0,0,1] neg_hi:[0,0,1]
	v_pk_mul_f32 v[20:21], v[30:31], s[18:19] op_sel_hi:[0,1]
	s_mov_b32 s11, s18
	v_pk_add_f32 v[18:19], v[18:19], v[32:33]
	v_mov_b32_e32 v38, v42
	v_pk_fma_f32 v[26:27], v[24:25], s[10:11], v[20:21] op_sel:[1,0,0]
	v_pk_fma_f32 v[20:21], v[24:25], s[10:11], v[20:21] op_sel:[1,0,0] neg_lo:[0,0,1] neg_hi:[0,0,1]
	v_pk_add_f32 v[24:25], v[22:23], v[16:17] op_sel:[1,0] op_sel_hi:[0,1]
	v_pk_add_f32 v[36:37], v[0:1], v[18:19]
	v_pk_fma_f32 v[38:39], v[40:41], s[12:13], v[38:39] op_sel_hi:[1,0,1]
	v_mov_b32_e32 v27, v21
	v_pk_add_f32 v[0:1], v[0:1], v[18:19] neg_lo:[0,1] neg_hi:[0,1]
	v_mov_b32_e32 v18, v25
	v_mov_b32_e32 v19, v24
	ds_write2_b64 v13, v[18:19], v[0:1] offset0:4 offset1:5
	v_pk_add_f32 v[0:1], v[38:39], v[26:27] neg_lo:[0,1] neg_hi:[0,1]
	v_pk_add_f32 v[18:19], v[48:49], v[56:57] neg_lo:[0,1] neg_hi:[0,1]
	ds_write2_b64 v13, v[0:1], v[18:19] offset0:6 offset1:7
	v_pk_add_f32 v[0:1], v[14:15], v[46:47] op_sel:[0,1] op_sel_hi:[1,0] neg_lo:[0,1] neg_hi:[0,1]
	v_pk_add_f32 v[14:15], v[22:23], v[16:17] op_sel:[1,0] op_sel_hi:[0,1] neg_lo:[0,1] neg_hi:[0,1]
	v_mov_b32_e32 v16, v15
	v_mov_b32_e32 v17, v14
	s_mov_b32 s5, 0xcccd
	ds_write2_b64 v13, v[0:1], v[16:17] offset0:8 offset1:9
	v_mul_u32_u24_sdwa v0, v12, s5 dst_sel:DWORD dst_unused:UNUSED_PAD src0_sel:WORD_0 src1_sel:DWORD
	v_lshrrev_b32_e32 v0, 19, v0
	v_mul_lo_u16_e32 v1, 10, v0
	v_pk_add_f32 v[20:21], v[38:39], v[26:27]
	v_sub_u16_e32 v1, v12, v1
	ds_write2_b64 v13, v[36:37], v[20:21] offset1:1
	v_lshlrev_b32_e32 v13, 5, v1
	s_waitcnt lgkmcnt(0)
	s_barrier
	global_load_dwordx4 v[14:17], v13, s[8:9]
	global_load_dwordx4 v[18:21], v13, s[8:9] offset:16
	s_movk_i32 s5, 0xcd
	v_mul_lo_u16_sdwa v13, v6, s5 dst_sel:DWORD dst_unused:UNUSED_PAD src0_sel:BYTE_0 src1_sel:DWORD
	v_lshrrev_b16_e32 v13, 11, v13
	v_mul_lo_u16_e32 v22, 10, v13
	v_sub_u16_e32 v46, v6, v22
	v_mov_b32_e32 v22, 5
	v_lshlrev_b32_sdwa v30, v22, v46 dst_sel:DWORD dst_unused:UNUSED_PAD src0_sel:DWORD src1_sel:BYTE_0
	global_load_dwordx4 v[22:25], v30, s[8:9]
	global_load_dwordx4 v[26:29], v30, s[8:9] offset:16
	ds_read2_b64 v[30:33], v8 offset0:4 offset1:254
	ds_read2_b64 v[34:37], v7 offset1:250
	ds_read2_b64 v[38:41], v11 offset0:4 offset1:254
	ds_read2_b64 v[42:45], v9 offset1:250
	v_mul_u32_u24_e32 v0, 0x190, v0
	v_lshlrev_b32_e32 v1, 3, v1
	v_add3_u32 v53, 0, v0, v1
	v_mov_b32_e32 v52, 3
	v_mul_u32_u24_e32 v13, 0x190, v13
	v_lshlrev_b32_sdwa v46, v52, v46 dst_sel:DWORD dst_unused:UNUSED_PAD src0_sel:DWORD src1_sel:BYTE_0
	v_add3_u32 v13, 0, v13, v46
	ds_read2_b64 v[46:49], v10 offset1:250
	s_waitcnt lgkmcnt(0)
	s_barrier
	s_waitcnt vmcnt(3)
	v_pk_mul_f32 v[0:1], v[14:15], v[32:33] op_sel:[0,1]
	s_nop 0
	v_pk_fma_f32 v[50:51], v[14:15], v[32:33], v[0:1] op_sel:[0,0,1] op_sel_hi:[1,1,0] neg_lo:[0,0,1] neg_hi:[0,0,1]
	v_pk_fma_f32 v[0:1], v[14:15], v[32:33], v[0:1] op_sel:[0,0,1] op_sel_hi:[1,0,0]
	s_nop 0
	v_mov_b32_e32 v0, v17
	v_mov_b32_e32 v51, v1
	v_pk_mul_f32 v[0:1], v[36:37], v[0:1] op_sel_hi:[1,0]
	s_nop 0
	v_pk_fma_f32 v[14:15], v[36:37], v[16:17], v[0:1] op_sel:[0,0,1] op_sel_hi:[1,1,0] neg_lo:[0,0,1] neg_hi:[0,0,1]
	v_pk_fma_f32 v[0:1], v[36:37], v[16:17], v[0:1] op_sel:[0,0,1] op_sel_hi:[1,0,0]
	s_nop 0
	v_mov_b32_e32 v15, v1
	s_waitcnt vmcnt(2)
	v_pk_mul_f32 v[0:1], v[40:41], v[18:19] op_sel:[0,1]
	s_nop 0
	v_pk_fma_f32 v[16:17], v[40:41], v[18:19], v[0:1] op_sel:[0,0,1] op_sel_hi:[1,1,0] neg_lo:[0,0,1] neg_hi:[0,0,1]
	v_pk_fma_f32 v[0:1], v[40:41], v[18:19], v[0:1] op_sel:[0,0,1] op_sel_hi:[1,0,0]
	s_nop 0
	v_mov_b32_e32 v0, v21
	v_mov_b32_e32 v17, v1
	v_pk_mul_f32 v[0:1], v[44:45], v[0:1] op_sel_hi:[1,0]
	s_nop 0
	v_pk_fma_f32 v[18:19], v[44:45], v[20:21], v[0:1] op_sel:[0,0,1] op_sel_hi:[1,1,0] neg_lo:[0,0,1] neg_hi:[0,0,1]
	v_pk_fma_f32 v[0:1], v[44:45], v[20:21], v[0:1] op_sel:[0,0,1] op_sel_hi:[1,0,0]
	s_waitcnt vmcnt(1)
	v_pk_mul_f32 v[20:21], v[22:23], v[30:31] op_sel:[0,1]
	v_mov_b32_e32 v19, v1
	v_pk_fma_f32 v[32:33], v[22:23], v[30:31], v[20:21] op_sel:[0,0,1] op_sel_hi:[1,1,0] neg_lo:[0,0,1] neg_hi:[0,0,1]
	v_pk_fma_f32 v[20:21], v[22:23], v[30:31], v[20:21] op_sel:[0,0,1] op_sel_hi:[1,0,0]
	v_pk_add_f32 v[0:1], v[48:49], v[50:51]
	v_mov_b32_e32 v33, v21
	v_pk_mul_f32 v[20:21], v[24:25], v[34:35] op_sel:[0,1]
	v_pk_add_f32 v[0:1], v[0:1], v[14:15]
	v_pk_fma_f32 v[22:23], v[24:25], v[34:35], v[20:21] op_sel:[0,0,1] op_sel_hi:[1,1,0] neg_lo:[0,0,1] neg_hi:[0,0,1]
	v_pk_fma_f32 v[20:21], v[24:25], v[34:35], v[20:21] op_sel:[0,0,1] op_sel_hi:[1,0,0]
	v_pk_add_f32 v[0:1], v[0:1], v[16:17]
	v_mov_b32_e32 v23, v21
	s_waitcnt vmcnt(0)
	v_pk_mul_f32 v[20:21], v[26:27], v[38:39] op_sel:[0,1]
	v_pk_add_f32 v[40:41], v[32:33], v[22:23] neg_lo:[0,1] neg_hi:[0,1]
	v_pk_fma_f32 v[24:25], v[26:27], v[38:39], v[20:21] op_sel:[0,0,1] op_sel_hi:[1,1,0] neg_lo:[0,0,1] neg_hi:[0,0,1]
	v_pk_fma_f32 v[20:21], v[26:27], v[38:39], v[20:21] op_sel:[0,0,1] op_sel_hi:[1,0,0]
	v_pk_add_f32 v[0:1], v[0:1], v[18:19]
	v_mov_b32_e32 v25, v21
	v_pk_mul_f32 v[20:21], v[28:29], v[42:43] op_sel:[0,1]
	v_pk_add_f32 v[36:37], v[22:23], v[24:25] neg_lo:[0,1] neg_hi:[0,1]
	v_pk_fma_f32 v[26:27], v[28:29], v[42:43], v[20:21] op_sel:[0,0,1] op_sel_hi:[1,1,0] neg_lo:[0,0,1] neg_hi:[0,0,1]
	v_pk_fma_f32 v[20:21], v[28:29], v[42:43], v[20:21] op_sel:[0,0,1] op_sel_hi:[1,0,0]
	v_pk_add_f32 v[28:29], v[22:23], v[24:25]
	v_mov_b32_e32 v27, v21
	v_pk_add_f32 v[30:31], v[32:33], v[26:27] neg_lo:[0,1] neg_hi:[0,1]
	v_pk_fma_f32 v[28:29], v[28:29], 0.5, v[46:47] op_sel_hi:[1,0,1] neg_lo:[1,0,0] neg_hi:[1,0,0]
	v_pk_mul_f32 v[34:35], v[30:31], s[4:5] op_sel_hi:[1,0]
	v_pk_add_f32 v[42:43], v[26:27], v[24:25] neg_lo:[0,1] neg_hi:[0,1]
	v_pk_add_f32 v[20:21], v[46:47], v[32:33]
	v_pk_mul_f32 v[38:39], v[36:37], s[10:11] op_sel_hi:[1,0]
	v_pk_add_f32 v[40:41], v[40:41], v[42:43]
	v_pk_add_f32 v[42:43], v[28:29], v[34:35] op_sel:[0,1] op_sel_hi:[1,0]
	v_pk_add_f32 v[28:29], v[28:29], v[34:35] op_sel:[0,1] op_sel_hi:[1,0] neg_lo:[0,1] neg_hi:[0,1]
	v_pk_add_f32 v[20:21], v[20:21], v[22:23]
	v_pk_add_f32 v[28:29], v[28:29], v[38:39] op_sel:[0,1] op_sel_hi:[1,0] neg_lo:[0,1] neg_hi:[0,1]
	v_pk_add_f32 v[34:35], v[42:43], v[38:39] op_sel:[0,1] op_sel_hi:[1,0]
	v_pk_add_f32 v[20:21], v[20:21], v[24:25]
	v_mov_b32_e32 v38, v34
	v_mov_b32_e32 v39, v29
	v_pk_add_f32 v[20:21], v[20:21], v[26:27]
	v_pk_fma_f32 v[38:39], v[40:41], s[12:13], v[38:39] op_sel_hi:[1,0,1]
	ds_write2_b64 v13, v[20:21], v[38:39] offset1:10
	v_pk_add_f32 v[20:21], v[32:33], v[26:27]
	v_pk_add_f32 v[22:23], v[22:23], v[32:33] neg_lo:[0,1] neg_hi:[0,1]
	v_pk_add_f32 v[24:25], v[24:25], v[26:27] neg_lo:[0,1] neg_hi:[0,1]
	v_pk_fma_f32 v[20:21], v[20:21], 0.5, v[46:47] op_sel_hi:[1,0,1] neg_lo:[1,0,0] neg_hi:[1,0,0]
	v_pk_add_f32 v[22:23], v[22:23], v[24:25]
	v_pk_mul_f32 v[24:25], v[36:37], s[4:5] op_sel_hi:[1,0]
	v_pk_mul_f32 v[26:27], v[30:31], s[10:11] op_sel_hi:[1,0]
	v_pk_add_f32 v[30:31], v[20:21], v[24:25] op_sel:[0,1] op_sel_hi:[1,0] neg_lo:[0,1] neg_hi:[0,1]
	v_pk_add_f32 v[20:21], v[20:21], v[24:25] op_sel:[0,1] op_sel_hi:[1,0]
	v_pk_add_f32 v[24:25], v[30:31], v[26:27] op_sel:[0,1] op_sel_hi:[1,0]
	v_pk_add_f32 v[20:21], v[20:21], v[26:27] op_sel:[0,1] op_sel_hi:[1,0] neg_lo:[0,1] neg_hi:[0,1]
	v_mov_b32_e32 v26, v24
	v_mov_b32_e32 v27, v21
	;; [unrolled: 1-line block ×3, first 2 shown]
	v_pk_fma_f32 v[26:27], v[22:23], s[12:13], v[26:27] op_sel_hi:[1,0,1]
	v_pk_fma_f32 v[20:21], v[22:23], s[12:13], v[20:21] op_sel_hi:[1,0,1]
	v_mov_b32_e32 v29, v35
	ds_write2_b64 v13, v[26:27], v[20:21] offset0:20 offset1:30
	v_pk_fma_f32 v[20:21], v[40:41], s[12:13], v[28:29] op_sel_hi:[1,0,1]
	ds_write_b64 v13, v[20:21] offset:320
	v_pk_add_f32 v[20:21], v[14:15], v[16:17]
	v_pk_add_f32 v[22:23], v[50:51], v[18:19] neg_lo:[0,1] neg_hi:[0,1]
	v_pk_fma_f32 v[20:21], v[20:21], 0.5, v[48:49] op_sel_hi:[1,0,1] neg_lo:[1,0,0] neg_hi:[1,0,0]
	v_pk_mul_f32 v[24:25], v[22:23], s[4:5] op_sel_hi:[1,0]
	v_pk_add_f32 v[26:27], v[14:15], v[16:17] neg_lo:[0,1] neg_hi:[0,1]
	v_pk_add_f32 v[30:31], v[50:51], v[14:15] neg_lo:[0,1] neg_hi:[0,1]
	;; [unrolled: 1-line block ×3, first 2 shown]
	v_pk_mul_f32 v[28:29], v[26:27], s[10:11] op_sel_hi:[1,0]
	v_pk_add_f32 v[30:31], v[30:31], v[32:33]
	v_pk_add_f32 v[32:33], v[20:21], v[24:25] op_sel:[0,1] op_sel_hi:[1,0]
	v_pk_add_f32 v[20:21], v[20:21], v[24:25] op_sel:[0,1] op_sel_hi:[1,0] neg_lo:[0,1] neg_hi:[0,1]
	v_pk_add_f32 v[24:25], v[32:33], v[28:29] op_sel:[0,1] op_sel_hi:[1,0]
	v_pk_add_f32 v[20:21], v[20:21], v[28:29] op_sel:[0,1] op_sel_hi:[1,0] neg_lo:[0,1] neg_hi:[0,1]
	v_mov_b32_e32 v28, v24
	v_mov_b32_e32 v29, v21
	v_pk_fma_f32 v[28:29], v[30:31], s[12:13], v[28:29] op_sel_hi:[1,0,1]
	ds_write2_b64 v53, v[0:1], v[28:29] offset1:10
	v_pk_add_f32 v[0:1], v[50:51], v[18:19]
	v_pk_add_f32 v[14:15], v[14:15], v[50:51] neg_lo:[0,1] neg_hi:[0,1]
	v_pk_add_f32 v[16:17], v[16:17], v[18:19] neg_lo:[0,1] neg_hi:[0,1]
	v_pk_fma_f32 v[0:1], v[0:1], 0.5, v[48:49] op_sel_hi:[1,0,1] neg_lo:[1,0,0] neg_hi:[1,0,0]
	v_pk_add_f32 v[14:15], v[14:15], v[16:17]
	v_pk_mul_f32 v[16:17], v[26:27], s[4:5] op_sel_hi:[1,0]
	v_pk_mul_f32 v[18:19], v[22:23], s[10:11] op_sel_hi:[1,0]
	v_pk_add_f32 v[22:23], v[0:1], v[16:17] op_sel:[0,1] op_sel_hi:[1,0] neg_lo:[0,1] neg_hi:[0,1]
	v_pk_add_f32 v[0:1], v[0:1], v[16:17] op_sel:[0,1] op_sel_hi:[1,0]
	v_pk_add_f32 v[16:17], v[22:23], v[18:19] op_sel:[0,1] op_sel_hi:[1,0]
	v_pk_add_f32 v[0:1], v[0:1], v[18:19] op_sel:[0,1] op_sel_hi:[1,0] neg_lo:[0,1] neg_hi:[0,1]
	v_mov_b32_e32 v18, v16
	v_mov_b32_e32 v19, v1
	;; [unrolled: 1-line block ×3, first 2 shown]
	v_pk_fma_f32 v[18:19], v[14:15], s[12:13], v[18:19] op_sel_hi:[1,0,1]
	v_pk_fma_f32 v[0:1], v[14:15], s[12:13], v[0:1] op_sel_hi:[1,0,1]
	v_mov_b32_e32 v21, v25
	ds_write2_b64 v53, v[18:19], v[0:1] offset0:20 offset1:30
	v_pk_fma_f32 v[0:1], v[30:31], s[12:13], v[20:21] op_sel_hi:[1,0,1]
	ds_write_b64 v53, v[0:1] offset:320
	v_mov_b32_e32 v0, 41
	v_mul_lo_u16_sdwa v0, v6, v0 dst_sel:DWORD dst_unused:UNUSED_PAD src0_sel:BYTE_0 src1_sel:DWORD
	v_lshrrev_b16_e32 v13, 11, v0
	v_mul_lo_u16_e32 v0, 50, v13
	v_sub_u16_e32 v42, v6, v0
	v_mov_b32_e32 v0, 9
	v_mul_u32_u24_sdwa v0, v42, v0 dst_sel:DWORD dst_unused:UNUSED_PAD src0_sel:BYTE_0 src1_sel:DWORD
	v_lshlrev_b32_e32 v30, 3, v0
	s_waitcnt lgkmcnt(0)
	s_barrier
	global_load_dwordx4 v[14:17], v30, s[8:9] offset:320
	global_load_dwordx4 v[18:21], v30, s[8:9] offset:336
	;; [unrolled: 1-line block ×4, first 2 shown]
	global_load_dwordx2 v[0:1], v30, s[8:9] offset:384
	ds_read2_b64 v[30:33], v10 offset1:250
	ds_read2_b64 v[34:37], v8 offset0:4 offset1:254
	ds_read2_b64 v[38:41], v7 offset1:250
	v_lshlrev_b32_sdwa v42, v52, v42 dst_sel:DWORD dst_unused:UNUSED_PAD src0_sel:DWORD src1_sel:BYTE_0
	v_mul_u32_u24_e32 v13, 0xfa0, v13
	v_add3_u32 v13, 0, v13, v42
	ds_read2_b64 v[42:45], v11 offset0:4 offset1:254
	ds_read2_b64 v[46:49], v9 offset1:250
	s_waitcnt lgkmcnt(0)
	s_barrier
	s_waitcnt vmcnt(4)
	v_pk_mul_f32 v[50:51], v[14:15], v[32:33] op_sel:[0,1]
	s_nop 0
	v_pk_fma_f32 v[52:53], v[14:15], v[32:33], v[50:51] op_sel:[0,0,1] op_sel_hi:[1,1,0] neg_lo:[0,0,1] neg_hi:[0,0,1]
	v_pk_fma_f32 v[14:15], v[14:15], v[32:33], v[50:51] op_sel:[0,0,1] op_sel_hi:[1,0,0]
	s_nop 0
	v_mov_b32_e32 v53, v15
	v_pk_mul_f32 v[14:15], v[16:17], v[34:35] op_sel:[0,1]
	s_nop 0
	v_pk_fma_f32 v[32:33], v[16:17], v[34:35], v[14:15] op_sel:[0,0,1] op_sel_hi:[1,1,0] neg_lo:[0,0,1] neg_hi:[0,0,1]
	v_pk_fma_f32 v[14:15], v[16:17], v[34:35], v[14:15] op_sel:[0,0,1] op_sel_hi:[1,0,0]
	s_nop 0
	v_mov_b32_e32 v33, v15
	s_waitcnt vmcnt(3)
	v_pk_mul_f32 v[14:15], v[18:19], v[36:37] op_sel:[0,1]
	s_nop 0
	v_pk_fma_f32 v[16:17], v[18:19], v[36:37], v[14:15] op_sel:[0,0,1] op_sel_hi:[1,1,0] neg_lo:[0,0,1] neg_hi:[0,0,1]
	v_pk_fma_f32 v[14:15], v[18:19], v[36:37], v[14:15] op_sel:[0,0,1] op_sel_hi:[1,0,0]
	s_nop 0
	v_mov_b32_e32 v17, v15
	v_pk_mul_f32 v[14:15], v[20:21], v[38:39] op_sel:[0,1]
	s_nop 0
	v_pk_fma_f32 v[18:19], v[20:21], v[38:39], v[14:15] op_sel:[0,0,1] op_sel_hi:[1,1,0] neg_lo:[0,0,1] neg_hi:[0,0,1]
	v_pk_fma_f32 v[14:15], v[20:21], v[38:39], v[14:15] op_sel:[0,0,1] op_sel_hi:[1,0,0]
	s_nop 0
	v_mov_b32_e32 v19, v15
	s_waitcnt vmcnt(2)
	v_pk_mul_f32 v[14:15], v[22:23], v[40:41] op_sel:[0,1]
	s_nop 0
	v_pk_fma_f32 v[20:21], v[22:23], v[40:41], v[14:15] op_sel:[0,0,1] op_sel_hi:[1,1,0] neg_lo:[0,0,1] neg_hi:[0,0,1]
	v_pk_fma_f32 v[14:15], v[22:23], v[40:41], v[14:15] op_sel:[0,0,1] op_sel_hi:[1,0,0]
	s_nop 0
	v_mov_b32_e32 v14, v25
	v_mov_b32_e32 v21, v15
	v_pk_mul_f32 v[14:15], v[42:43], v[14:15] op_sel_hi:[1,0]
	v_pk_add_f32 v[54:55], v[16:17], v[20:21] neg_lo:[0,1] neg_hi:[0,1]
	v_pk_fma_f32 v[22:23], v[42:43], v[24:25], v[14:15] op_sel:[0,0,1] op_sel_hi:[1,1,0] neg_lo:[0,0,1] neg_hi:[0,0,1]
	v_pk_fma_f32 v[14:15], v[42:43], v[24:25], v[14:15] op_sel:[0,0,1] op_sel_hi:[1,0,0]
	v_pk_add_f32 v[42:43], v[32:33], v[18:19] neg_lo:[0,1] neg_hi:[0,1]
	v_mov_b32_e32 v23, v15
	s_waitcnt vmcnt(1)
	v_pk_mul_f32 v[14:15], v[44:45], v[26:27] op_sel:[0,1]
	v_pk_add_f32 v[38:39], v[18:19], v[22:23] neg_lo:[0,1] neg_hi:[0,1]
	v_pk_fma_f32 v[24:25], v[44:45], v[26:27], v[14:15] op_sel:[0,0,1] op_sel_hi:[1,1,0] neg_lo:[0,0,1] neg_hi:[0,0,1]
	v_pk_fma_f32 v[14:15], v[44:45], v[26:27], v[14:15] op_sel:[0,0,1] op_sel_hi:[1,0,0]
	v_pk_mul_f32 v[40:41], v[38:39], s[10:11] op_sel_hi:[1,0]
	v_mov_b32_e32 v14, v29
	v_mov_b32_e32 v25, v15
	v_pk_mul_f32 v[14:15], v[46:47], v[14:15] op_sel_hi:[1,0]
	s_nop 0
	v_pk_fma_f32 v[26:27], v[46:47], v[28:29], v[14:15] op_sel:[0,0,1] op_sel_hi:[1,1,0] neg_lo:[0,0,1] neg_hi:[0,0,1]
	v_pk_fma_f32 v[14:15], v[46:47], v[28:29], v[14:15] op_sel:[0,0,1] op_sel_hi:[1,0,0]
	s_nop 0
	v_mov_b32_e32 v27, v15
	s_waitcnt vmcnt(0)
	v_pk_mul_f32 v[14:15], v[48:49], v[0:1] op_sel:[0,1]
	v_pk_add_f32 v[34:35], v[32:33], v[26:27] neg_lo:[0,1] neg_hi:[0,1]
	v_pk_fma_f32 v[28:29], v[48:49], v[0:1], v[14:15] op_sel:[0,0,1] op_sel_hi:[1,1,0] neg_lo:[0,0,1] neg_hi:[0,0,1]
	v_pk_fma_f32 v[0:1], v[48:49], v[0:1], v[14:15] op_sel:[0,0,1] op_sel_hi:[1,0,0]
	v_pk_add_f32 v[14:15], v[18:19], v[22:23]
	v_pk_mul_f32 v[36:37], v[34:35], s[4:5] op_sel_hi:[1,0]
	v_pk_fma_f32 v[14:15], v[14:15], 0.5, v[30:31] op_sel_hi:[1,0,1] neg_lo:[1,0,0] neg_hi:[1,0,0]
	v_pk_add_f32 v[44:45], v[26:27], v[22:23] neg_lo:[0,1] neg_hi:[0,1]
	v_mov_b32_e32 v29, v1
	v_pk_add_f32 v[42:43], v[42:43], v[44:45]
	v_pk_add_f32 v[44:45], v[14:15], v[36:37] op_sel:[0,1] op_sel_hi:[1,0]
	v_pk_add_f32 v[14:15], v[14:15], v[36:37] op_sel:[0,1] op_sel_hi:[1,0] neg_lo:[0,1] neg_hi:[0,1]
	v_pk_add_f32 v[36:37], v[44:45], v[40:41] op_sel:[0,1] op_sel_hi:[1,0]
	v_pk_add_f32 v[14:15], v[14:15], v[40:41] op_sel:[0,1] op_sel_hi:[1,0] neg_lo:[0,1] neg_hi:[0,1]
	v_pk_add_f32 v[40:41], v[20:21], v[24:25]
	v_pk_add_f32 v[44:45], v[16:17], v[28:29] neg_lo:[0,1] neg_hi:[0,1]
	v_pk_fma_f32 v[40:41], v[40:41], 0.5, v[52:53] op_sel_hi:[1,0,1] neg_lo:[1,0,0] neg_hi:[1,0,0]
	v_pk_mul_f32 v[46:47], v[44:45], s[4:5] op_sel_hi:[1,0]
	v_pk_add_f32 v[48:49], v[20:21], v[24:25] neg_lo:[0,1] neg_hi:[0,1]
	v_pk_add_f32 v[56:57], v[28:29], v[24:25] neg_lo:[0,1] neg_hi:[0,1]
	v_pk_mul_f32 v[50:51], v[48:49], s[10:11] op_sel_hi:[1,0]
	v_pk_add_f32 v[54:55], v[54:55], v[56:57]
	v_pk_add_f32 v[56:57], v[40:41], v[46:47] op_sel:[0,1] op_sel_hi:[1,0]
	v_pk_add_f32 v[40:41], v[40:41], v[46:47] op_sel:[0,1] op_sel_hi:[1,0] neg_lo:[0,1] neg_hi:[0,1]
	v_pk_add_f32 v[46:47], v[56:57], v[50:51] op_sel:[0,1] op_sel_hi:[1,0]
	v_pk_add_f32 v[40:41], v[40:41], v[50:51] op_sel:[0,1] op_sel_hi:[1,0] neg_lo:[0,1] neg_hi:[0,1]
	v_mov_b32_e32 v50, v46
	v_mov_b32_e32 v51, v41
	v_pk_fma_f32 v[50:51], v[54:55], s[12:13], v[50:51] op_sel_hi:[1,0,1]
	v_pk_add_f32 v[0:1], v[30:31], v[32:33]
	v_pk_mul_f32 v[56:57], v[50:51], s[10:11] op_sel_hi:[1,0]
	v_pk_add_f32 v[0:1], v[0:1], v[18:19]
	v_pk_fma_f32 v[58:59], v[50:51], s[18:19], v[56:57] op_sel:[0,0,1] op_sel_hi:[1,0,0]
	v_pk_fma_f32 v[50:51], v[50:51], s[18:19], v[56:57] op_sel:[0,0,1] op_sel_hi:[1,0,0] neg_lo:[0,0,1] neg_hi:[0,0,1]
	v_pk_add_f32 v[56:57], v[52:53], v[16:17]
	v_pk_add_f32 v[0:1], v[0:1], v[22:23]
	;; [unrolled: 1-line block ×3, first 2 shown]
	v_mov_b32_e32 v59, v51
	v_pk_add_f32 v[56:57], v[56:57], v[24:25]
	v_mov_b32_e32 v50, v36
	v_mov_b32_e32 v51, v15
	v_pk_add_f32 v[0:1], v[0:1], v[26:27]
	v_pk_add_f32 v[56:57], v[56:57], v[28:29]
	v_pk_fma_f32 v[50:51], v[42:43], s[12:13], v[50:51] op_sel_hi:[1,0,1]
	v_pk_add_f32 v[60:61], v[0:1], v[56:57]
	v_pk_add_f32 v[62:63], v[50:51], v[58:59]
	v_pk_add_f32 v[18:19], v[18:19], v[32:33] neg_lo:[0,1] neg_hi:[0,1]
	v_pk_add_f32 v[22:23], v[22:23], v[26:27] neg_lo:[0,1] neg_hi:[0,1]
	ds_write2_b64 v13, v[60:61], v[62:63] offset1:50
	v_pk_add_f32 v[60:61], v[32:33], v[26:27]
	v_pk_add_f32 v[18:19], v[18:19], v[22:23]
	;; [unrolled: 1-line block ×3, first 2 shown]
	v_pk_add_f32 v[16:17], v[20:21], v[16:17] neg_lo:[0,1] neg_hi:[0,1]
	v_pk_add_f32 v[20:21], v[24:25], v[28:29] neg_lo:[0,1] neg_hi:[0,1]
	v_pk_fma_f32 v[30:31], v[60:61], 0.5, v[30:31] op_sel_hi:[1,0,1] neg_lo:[1,0,0] neg_hi:[1,0,0]
	v_pk_fma_f32 v[22:23], v[22:23], 0.5, v[52:53] op_sel_hi:[1,0,1] neg_lo:[1,0,0] neg_hi:[1,0,0]
	v_pk_add_f32 v[16:17], v[16:17], v[20:21]
	v_pk_mul_f32 v[20:21], v[38:39], s[4:5] op_sel_hi:[1,0]
	v_pk_mul_f32 v[28:29], v[48:49], s[4:5] op_sel_hi:[1,0]
	v_pk_add_f32 v[26:27], v[30:31], v[20:21] op_sel:[0,1] op_sel_hi:[1,0] neg_lo:[0,1] neg_hi:[0,1]
	v_pk_add_f32 v[20:21], v[30:31], v[20:21] op_sel:[0,1] op_sel_hi:[1,0]
	v_pk_mul_f32 v[30:31], v[44:45], s[10:11] op_sel_hi:[1,0]
	v_pk_add_f32 v[32:33], v[22:23], v[28:29] op_sel:[0,1] op_sel_hi:[1,0] neg_lo:[0,1] neg_hi:[0,1]
	v_pk_add_f32 v[22:23], v[22:23], v[28:29] op_sel:[0,1] op_sel_hi:[1,0]
	v_pk_add_f32 v[28:29], v[32:33], v[30:31] op_sel:[0,1] op_sel_hi:[1,0]
	v_pk_add_f32 v[22:23], v[22:23], v[30:31] op_sel:[0,1] op_sel_hi:[1,0] neg_lo:[0,1] neg_hi:[0,1]
	v_pk_mul_f32 v[24:25], v[34:35], s[10:11] op_sel_hi:[1,0]
	v_mov_b32_e32 v30, v28
	v_mov_b32_e32 v31, v23
	v_pk_add_f32 v[20:21], v[20:21], v[24:25] op_sel:[0,1] op_sel_hi:[1,0] neg_lo:[0,1] neg_hi:[0,1]
	v_pk_add_f32 v[24:25], v[26:27], v[24:25] op_sel:[0,1] op_sel_hi:[1,0]
	v_pk_fma_f32 v[30:31], v[16:17], s[12:13], v[30:31] op_sel_hi:[1,0,1]
	v_mov_b32_e32 v23, v29
	v_mov_b32_e32 v26, v24
	;; [unrolled: 1-line block ×3, first 2 shown]
	v_pk_mul_f32 v[32:33], v[30:31], s[4:5] op_sel_hi:[1,0]
	v_mov_b32_e32 v21, v25
	v_pk_fma_f32 v[16:17], v[16:17], s[12:13], v[22:23] op_sel_hi:[1,0,1]
	v_pk_fma_f32 v[26:27], v[18:19], s[12:13], v[26:27] op_sel_hi:[1,0,1]
	v_pk_fma_f32 v[34:35], v[30:31], s[12:13], v[32:33] op_sel:[0,0,1] op_sel_hi:[1,0,0]
	v_pk_fma_f32 v[30:31], v[30:31], s[12:13], v[32:33] op_sel:[0,0,1] op_sel_hi:[1,0,0] neg_lo:[0,0,1] neg_hi:[0,0,1]
	v_pk_fma_f32 v[18:19], v[18:19], s[12:13], v[20:21] op_sel_hi:[1,0,1]
	v_pk_mul_f32 v[20:21], v[16:17], s[12:13] op_sel_hi:[1,0]
	v_mov_b32_e32 v35, v31
	v_pk_fma_f32 v[16:17], v[16:17], s[14:15], v[20:21] op_sel:[0,0,1] op_sel_hi:[1,1,0] neg_lo:[0,0,1] neg_hi:[0,0,1]
	v_pk_add_f32 v[30:31], v[26:27], v[34:35]
	v_pk_add_f32 v[20:21], v[18:19], v[16:17] op_sel:[0,1] op_sel_hi:[1,0]
	v_mov_b32_e32 v41, v47
	ds_write2_b64 v13, v[30:31], v[20:21] offset0:100 offset1:150
	v_pk_fma_f32 v[20:21], v[54:55], s[12:13], v[40:41] op_sel_hi:[1,0,1]
	v_mov_b32_e32 v15, v37
	v_pk_mul_f32 v[22:23], v[20:21], s[18:19] op_sel_hi:[1,0]
	v_pk_fma_f32 v[14:15], v[42:43], s[12:13], v[14:15] op_sel_hi:[1,0,1]
	v_pk_fma_f32 v[20:21], v[20:21], s[16:17], v[22:23] op_sel:[0,0,1] op_sel_hi:[1,1,0] neg_lo:[0,0,1] neg_hi:[0,0,1]
	v_pk_add_f32 v[0:1], v[0:1], v[56:57] neg_lo:[0,1] neg_hi:[0,1]
	v_pk_add_f32 v[22:23], v[14:15], v[20:21] op_sel:[0,1] op_sel_hi:[1,0]
	ds_write2_b64 v13, v[22:23], v[0:1] offset0:200 offset1:250
	v_pk_add_f32 v[0:1], v[50:51], v[58:59] neg_lo:[0,1] neg_hi:[0,1]
	v_pk_add_f32 v[22:23], v[26:27], v[34:35] neg_lo:[0,1] neg_hi:[0,1]
	v_add_u32_e32 v13, 0x800, v13
	ds_write2_b64 v13, v[0:1], v[22:23] offset0:44 offset1:94
	v_pk_add_f32 v[0:1], v[18:19], v[16:17] op_sel:[0,1] op_sel_hi:[1,0] neg_lo:[0,1] neg_hi:[0,1]
	v_pk_add_f32 v[14:15], v[14:15], v[20:21] op_sel:[0,1] op_sel_hi:[1,0] neg_lo:[0,1] neg_hi:[0,1]
	ds_write2_b64 v13, v[0:1], v[14:15] offset0:144 offset1:194
	v_lshlrev_b32_e32 v0, 2, v6
	v_mov_b32_e32 v1, 0
	v_lshl_add_u64 v[22:23], v[0:1], 3, s[8:9]
	s_waitcnt lgkmcnt(0)
	s_barrier
	global_load_dwordx4 v[14:17], v[22:23], off offset:3920
	global_load_dwordx4 v[18:21], v[22:23], off offset:3936
	v_lshlrev_b32_e32 v0, 2, v12
	v_lshl_add_u64 v[12:13], v[0:1], 3, s[8:9]
	global_load_dwordx4 v[22:25], v[12:13], off offset:3920
	global_load_dwordx4 v[26:29], v[12:13], off offset:3936
	ds_read2_b64 v[30:33], v8 offset0:4 offset1:254
	ds_read2_b64 v[34:37], v7 offset1:250
	ds_read2_b64 v[38:41], v11 offset0:4 offset1:254
	ds_read2_b64 v[42:45], v9 offset1:250
	ds_read2_b64 v[46:49], v10 offset1:250
	s_waitcnt lgkmcnt(0)
	s_barrier
	s_waitcnt vmcnt(3)
	v_pk_mul_f32 v[12:13], v[14:15], v[30:31] op_sel:[0,1]
	s_nop 0
	v_pk_fma_f32 v[50:51], v[14:15], v[30:31], v[12:13] op_sel:[0,0,1] op_sel_hi:[1,1,0] neg_lo:[0,0,1] neg_hi:[0,0,1]
	v_pk_fma_f32 v[12:13], v[14:15], v[30:31], v[12:13] op_sel:[0,0,1] op_sel_hi:[1,0,0]
	s_waitcnt vmcnt(1)
	v_mov_b32_e32 v0, v25
	v_mov_b32_e32 v51, v13
	v_pk_mul_f32 v[12:13], v[16:17], v[34:35] op_sel:[0,1]
	s_nop 0
	v_pk_fma_f32 v[14:15], v[16:17], v[34:35], v[12:13] op_sel:[0,0,1] op_sel_hi:[1,1,0] neg_lo:[0,0,1] neg_hi:[0,0,1]
	v_pk_fma_f32 v[12:13], v[16:17], v[34:35], v[12:13] op_sel:[0,0,1] op_sel_hi:[1,0,0]
	s_nop 0
	v_mov_b32_e32 v15, v13
	v_pk_mul_f32 v[12:13], v[18:19], v[38:39] op_sel:[0,1]
	s_nop 0
	v_pk_fma_f32 v[16:17], v[18:19], v[38:39], v[12:13] op_sel:[0,0,1] op_sel_hi:[1,1,0] neg_lo:[0,0,1] neg_hi:[0,0,1]
	v_pk_fma_f32 v[12:13], v[18:19], v[38:39], v[12:13] op_sel:[0,0,1] op_sel_hi:[1,0,0]
	s_nop 0
	v_mov_b32_e32 v17, v13
	v_pk_mul_f32 v[12:13], v[20:21], v[42:43] op_sel:[0,1]
	s_nop 0
	v_pk_fma_f32 v[18:19], v[20:21], v[42:43], v[12:13] op_sel:[0,0,1] op_sel_hi:[1,1,0] neg_lo:[0,0,1] neg_hi:[0,0,1]
	v_pk_fma_f32 v[12:13], v[20:21], v[42:43], v[12:13] op_sel:[0,0,1] op_sel_hi:[1,0,0]
	v_pk_mul_f32 v[20:21], v[22:23], v[32:33] op_sel:[0,1]
	v_mov_b32_e32 v19, v13
	v_pk_fma_f32 v[30:31], v[22:23], v[32:33], v[20:21] op_sel:[0,0,1] op_sel_hi:[1,1,0] neg_lo:[0,0,1] neg_hi:[0,0,1]
	v_pk_fma_f32 v[20:21], v[22:23], v[32:33], v[20:21] op_sel:[0,0,1] op_sel_hi:[1,0,0]
	v_pk_add_f32 v[32:33], v[50:51], v[18:19] neg_lo:[0,1] neg_hi:[0,1]
	v_mov_b32_e32 v31, v21
	v_pk_mul_f32 v[20:21], v[36:37], v[0:1] op_sel_hi:[1,0]
	s_waitcnt vmcnt(0)
	v_mov_b32_e32 v0, v29
	v_pk_fma_f32 v[22:23], v[36:37], v[24:25], v[20:21] op_sel:[0,0,1] op_sel_hi:[1,1,0] neg_lo:[0,0,1] neg_hi:[0,0,1]
	v_pk_fma_f32 v[20:21], v[36:37], v[24:25], v[20:21] op_sel:[0,0,1] op_sel_hi:[1,0,0]
	v_pk_add_f32 v[12:13], v[46:47], v[50:51]
	v_mov_b32_e32 v23, v21
	v_pk_mul_f32 v[20:21], v[40:41], v[26:27] op_sel:[0,1]
	v_pk_mul_f32 v[34:35], v[32:33], s[4:5] op_sel_hi:[1,0]
	v_pk_fma_f32 v[24:25], v[40:41], v[26:27], v[20:21] op_sel:[0,0,1] op_sel_hi:[1,1,0] neg_lo:[0,0,1] neg_hi:[0,0,1]
	v_pk_fma_f32 v[20:21], v[40:41], v[26:27], v[20:21] op_sel:[0,0,1] op_sel_hi:[1,0,0]
	v_pk_add_f32 v[36:37], v[14:15], v[16:17] neg_lo:[0,1] neg_hi:[0,1]
	v_mov_b32_e32 v25, v21
	v_pk_mul_f32 v[20:21], v[44:45], v[0:1] op_sel_hi:[1,0]
	v_pk_add_f32 v[40:41], v[50:51], v[14:15] neg_lo:[0,1] neg_hi:[0,1]
	v_pk_fma_f32 v[26:27], v[44:45], v[28:29], v[20:21] op_sel:[0,0,1] op_sel_hi:[1,1,0] neg_lo:[0,0,1] neg_hi:[0,0,1]
	v_pk_fma_f32 v[20:21], v[44:45], v[28:29], v[20:21] op_sel:[0,0,1] op_sel_hi:[1,0,0]
	v_pk_add_f32 v[28:29], v[14:15], v[16:17]
	v_pk_add_f32 v[42:43], v[18:19], v[16:17] neg_lo:[0,1] neg_hi:[0,1]
	v_pk_fma_f32 v[28:29], v[28:29], 0.5, v[46:47] op_sel_hi:[1,0,1] neg_lo:[1,0,0] neg_hi:[1,0,0]
	v_pk_add_f32 v[12:13], v[12:13], v[14:15]
	v_pk_mul_f32 v[38:39], v[36:37], s[10:11] op_sel_hi:[1,0]
	v_pk_add_f32 v[40:41], v[40:41], v[42:43]
	v_pk_add_f32 v[42:43], v[28:29], v[34:35] op_sel:[0,1] op_sel_hi:[1,0]
	v_pk_add_f32 v[12:13], v[12:13], v[16:17]
	v_mov_b32_e32 v27, v21
	v_pk_add_f32 v[20:21], v[48:49], v[30:31]
	v_pk_add_f32 v[28:29], v[28:29], v[34:35] op_sel:[0,1] op_sel_hi:[1,0] neg_lo:[0,1] neg_hi:[0,1]
	v_pk_add_f32 v[34:35], v[42:43], v[38:39] op_sel:[0,1] op_sel_hi:[1,0]
	v_pk_add_f32 v[42:43], v[50:51], v[18:19]
	v_pk_add_f32 v[14:15], v[14:15], v[50:51] neg_lo:[0,1] neg_hi:[0,1]
	v_pk_add_f32 v[16:17], v[16:17], v[18:19] neg_lo:[0,1] neg_hi:[0,1]
	v_pk_add_f32 v[20:21], v[20:21], v[22:23]
	v_pk_fma_f32 v[42:43], v[42:43], 0.5, v[46:47] op_sel_hi:[1,0,1] neg_lo:[1,0,0] neg_hi:[1,0,0]
	v_pk_add_f32 v[14:15], v[14:15], v[16:17]
	v_pk_mul_f32 v[16:17], v[36:37], s[4:5] op_sel_hi:[1,0]
	v_pk_add_f32 v[12:13], v[12:13], v[18:19]
	v_pk_add_f32 v[20:21], v[20:21], v[24:25]
	v_pk_mul_f32 v[18:19], v[32:33], s[10:11] op_sel_hi:[1,0]
	v_pk_add_f32 v[32:33], v[42:43], v[16:17] op_sel:[0,1] op_sel_hi:[1,0] neg_lo:[0,1] neg_hi:[0,1]
	v_pk_add_f32 v[16:17], v[42:43], v[16:17] op_sel:[0,1] op_sel_hi:[1,0]
	v_pk_add_f32 v[20:21], v[20:21], v[26:27]
	v_pk_add_f32 v[28:29], v[28:29], v[38:39] op_sel:[0,1] op_sel_hi:[1,0] neg_lo:[0,1] neg_hi:[0,1]
	v_pk_add_f32 v[16:17], v[16:17], v[18:19] op_sel:[0,1] op_sel_hi:[1,0] neg_lo:[0,1] neg_hi:[0,1]
	v_pk_add_f32 v[18:19], v[32:33], v[18:19] op_sel:[0,1] op_sel_hi:[1,0]
	v_mov_b32_e32 v38, v34
	v_mov_b32_e32 v39, v29
	;; [unrolled: 1-line block ×6, first 2 shown]
	ds_write2_b64 v10, v[12:13], v[20:21] offset1:250
	v_pk_add_f32 v[12:13], v[22:23], v[24:25]
	v_pk_add_f32 v[18:19], v[30:31], v[26:27] neg_lo:[0,1] neg_hi:[0,1]
	v_pk_fma_f32 v[38:39], v[40:41], s[12:13], v[38:39] op_sel_hi:[1,0,1]
	v_pk_fma_f32 v[32:33], v[14:15], s[12:13], v[32:33] op_sel_hi:[1,0,1]
	;; [unrolled: 1-line block ×4, first 2 shown]
	v_pk_fma_f32 v[12:13], v[12:13], 0.5, v[48:49] op_sel_hi:[1,0,1] neg_lo:[1,0,0] neg_hi:[1,0,0]
	v_pk_mul_f32 v[20:21], v[18:19], s[4:5] op_sel_hi:[1,0]
	v_pk_add_f32 v[28:29], v[22:23], v[24:25] neg_lo:[0,1] neg_hi:[0,1]
	v_pk_add_f32 v[36:37], v[30:31], v[22:23] neg_lo:[0,1] neg_hi:[0,1]
	;; [unrolled: 1-line block ×3, first 2 shown]
	v_pk_mul_f32 v[34:35], v[28:29], s[10:11] op_sel_hi:[1,0]
	v_pk_add_f32 v[36:37], v[36:37], v[40:41]
	v_pk_add_f32 v[40:41], v[12:13], v[20:21] op_sel:[0,1] op_sel_hi:[1,0]
	v_pk_add_f32 v[12:13], v[12:13], v[20:21] op_sel:[0,1] op_sel_hi:[1,0] neg_lo:[0,1] neg_hi:[0,1]
	v_pk_add_f32 v[20:21], v[40:41], v[34:35] op_sel:[0,1] op_sel_hi:[1,0]
	v_pk_add_f32 v[12:13], v[12:13], v[34:35] op_sel:[0,1] op_sel_hi:[1,0] neg_lo:[0,1] neg_hi:[0,1]
	v_mov_b32_e32 v34, v20
	v_mov_b32_e32 v35, v13
	v_pk_fma_f32 v[34:35], v[36:37], s[12:13], v[34:35] op_sel_hi:[1,0,1]
	ds_write2_b64 v8, v[38:39], v[34:35] offset0:4 offset1:254
	v_pk_add_f32 v[34:35], v[30:31], v[26:27]
	v_pk_add_f32 v[22:23], v[22:23], v[30:31] neg_lo:[0,1] neg_hi:[0,1]
	v_pk_add_f32 v[24:25], v[24:25], v[26:27] neg_lo:[0,1] neg_hi:[0,1]
	v_pk_fma_f32 v[34:35], v[34:35], 0.5, v[48:49] op_sel_hi:[1,0,1] neg_lo:[1,0,0] neg_hi:[1,0,0]
	v_pk_add_f32 v[22:23], v[22:23], v[24:25]
	v_pk_mul_f32 v[24:25], v[28:29], s[4:5] op_sel_hi:[1,0]
	v_pk_mul_f32 v[18:19], v[18:19], s[10:11] op_sel_hi:[1,0]
	v_pk_add_f32 v[26:27], v[34:35], v[24:25] op_sel:[0,1] op_sel_hi:[1,0] neg_lo:[0,1] neg_hi:[0,1]
	v_pk_add_f32 v[24:25], v[34:35], v[24:25] op_sel:[0,1] op_sel_hi:[1,0]
	v_mov_b32_e32 v13, v21
	v_pk_add_f32 v[24:25], v[24:25], v[18:19] op_sel:[0,1] op_sel_hi:[1,0] neg_lo:[0,1] neg_hi:[0,1]
	v_pk_add_f32 v[18:19], v[26:27], v[18:19] op_sel:[0,1] op_sel_hi:[1,0]
	v_mov_b32_e32 v27, v25
	v_mov_b32_e32 v25, v19
	;; [unrolled: 1-line block ×3, first 2 shown]
	v_pk_fma_f32 v[18:19], v[22:23], s[12:13], v[24:25] op_sel_hi:[1,0,1]
	v_pk_fma_f32 v[26:27], v[22:23], s[12:13], v[26:27] op_sel_hi:[1,0,1]
	ds_write2_b64 v11, v[14:15], v[18:19] offset0:4 offset1:254
	v_pk_fma_f32 v[10:11], v[36:37], s[12:13], v[12:13] op_sel_hi:[1,0,1]
	ds_write2_b64 v7, v[32:33], v[26:27] offset1:250
	ds_write2_b64 v9, v[16:17], v[10:11] offset1:250
	s_waitcnt lgkmcnt(0)
	s_barrier
	s_and_saveexec_b64 s[4:5], s[0:1]
	s_cbranch_execz .LBB0_21
; %bb.20:
	v_lshl_add_u32 v14, v6, 3, 0
	v_mul_lo_u32 v0, s3, v4
	v_mul_lo_u32 v7, s2, v5
	v_mad_u64_u32 v[4:5], s[0:1], s2, v4, 0
	ds_read2_b64 v[8:11], v14 offset1:250
	v_add3_u32 v5, v5, v7, v0
	v_lshl_add_u64 v[4:5], v[4:5], 3, s[6:7]
	v_mov_b32_e32 v7, v1
	v_lshl_add_u64 v[12:13], v[2:3], 3, v[4:5]
	v_lshl_add_u64 v[2:3], v[6:7], 3, v[12:13]
	s_waitcnt lgkmcnt(0)
	global_store_dwordx2 v[2:3], v[8:9], off
	v_add_u32_e32 v2, 0xf80, v14
	ds_read2_b64 v[2:5], v2 offset0:4 offset1:254
	v_add_u32_e32 v0, 0xfa, v6
	v_lshl_add_u64 v[8:9], v[0:1], 3, v[12:13]
	v_add_u32_e32 v0, 0x1f4, v6
	global_store_dwordx2 v[8:9], v[10:11], off
	v_lshl_add_u64 v[8:9], v[0:1], 3, v[12:13]
	s_waitcnt lgkmcnt(0)
	global_store_dwordx2 v[8:9], v[2:3], off
	v_add_u32_e32 v2, 0x1f40, v14
	ds_read2_b64 v[8:11], v2 offset1:250
	v_add_u32_e32 v0, 0x2ee, v6
	v_lshl_add_u64 v[2:3], v[0:1], 3, v[12:13]
	v_add_u32_e32 v0, 0x3e8, v6
	global_store_dwordx2 v[2:3], v[4:5], off
	v_lshl_add_u64 v[2:3], v[0:1], 3, v[12:13]
	s_waitcnt lgkmcnt(0)
	global_store_dwordx2 v[2:3], v[8:9], off
	v_add_u32_e32 v2, 0x2ec0, v14
	ds_read2_b64 v[2:5], v2 offset0:4 offset1:254
	v_add_u32_e32 v0, 0x4e2, v6
	v_lshl_add_u64 v[8:9], v[0:1], 3, v[12:13]
	v_add_u32_e32 v0, 0x5dc, v6
	global_store_dwordx2 v[8:9], v[10:11], off
	v_lshl_add_u64 v[8:9], v[0:1], 3, v[12:13]
	s_waitcnt lgkmcnt(0)
	global_store_dwordx2 v[8:9], v[2:3], off
	v_add_u32_e32 v2, 0x3e80, v14
	ds_read2_b64 v[8:11], v2 offset1:250
	v_add_u32_e32 v0, 0x6d6, v6
	v_lshl_add_u64 v[2:3], v[0:1], 3, v[12:13]
	v_add_u32_e32 v0, 0x7d0, v6
	global_store_dwordx2 v[2:3], v[4:5], off
	v_lshl_add_u64 v[2:3], v[0:1], 3, v[12:13]
	v_add_u32_e32 v0, 0x8ca, v6
	v_lshl_add_u64 v[0:1], v[0:1], 3, v[12:13]
	s_waitcnt lgkmcnt(0)
	global_store_dwordx2 v[2:3], v[8:9], off
	global_store_dwordx2 v[0:1], v[10:11], off
.LBB0_21:
	s_endpgm
	.section	.rodata,"a",@progbits
	.p2align	6, 0x0
	.amdhsa_kernel fft_rtc_fwd_len2500_factors_10_5_10_5_wgs_250_tpt_250_halfLds_sp_op_CI_CI_unitstride_sbrr_C2R_dirReg
		.amdhsa_group_segment_fixed_size 0
		.amdhsa_private_segment_fixed_size 0
		.amdhsa_kernarg_size 104
		.amdhsa_user_sgpr_count 2
		.amdhsa_user_sgpr_dispatch_ptr 0
		.amdhsa_user_sgpr_queue_ptr 0
		.amdhsa_user_sgpr_kernarg_segment_ptr 1
		.amdhsa_user_sgpr_dispatch_id 0
		.amdhsa_user_sgpr_kernarg_preload_length 0
		.amdhsa_user_sgpr_kernarg_preload_offset 0
		.amdhsa_user_sgpr_private_segment_size 0
		.amdhsa_uses_dynamic_stack 0
		.amdhsa_enable_private_segment 0
		.amdhsa_system_sgpr_workgroup_id_x 1
		.amdhsa_system_sgpr_workgroup_id_y 0
		.amdhsa_system_sgpr_workgroup_id_z 0
		.amdhsa_system_sgpr_workgroup_info 0
		.amdhsa_system_vgpr_workitem_id 0
		.amdhsa_next_free_vgpr 64
		.amdhsa_next_free_sgpr 28
		.amdhsa_accum_offset 64
		.amdhsa_reserve_vcc 1
		.amdhsa_float_round_mode_32 0
		.amdhsa_float_round_mode_16_64 0
		.amdhsa_float_denorm_mode_32 3
		.amdhsa_float_denorm_mode_16_64 3
		.amdhsa_dx10_clamp 1
		.amdhsa_ieee_mode 1
		.amdhsa_fp16_overflow 0
		.amdhsa_tg_split 0
		.amdhsa_exception_fp_ieee_invalid_op 0
		.amdhsa_exception_fp_denorm_src 0
		.amdhsa_exception_fp_ieee_div_zero 0
		.amdhsa_exception_fp_ieee_overflow 0
		.amdhsa_exception_fp_ieee_underflow 0
		.amdhsa_exception_fp_ieee_inexact 0
		.amdhsa_exception_int_div_zero 0
	.end_amdhsa_kernel
	.text
.Lfunc_end0:
	.size	fft_rtc_fwd_len2500_factors_10_5_10_5_wgs_250_tpt_250_halfLds_sp_op_CI_CI_unitstride_sbrr_C2R_dirReg, .Lfunc_end0-fft_rtc_fwd_len2500_factors_10_5_10_5_wgs_250_tpt_250_halfLds_sp_op_CI_CI_unitstride_sbrr_C2R_dirReg
                                        ; -- End function
	.section	.AMDGPU.csdata,"",@progbits
; Kernel info:
; codeLenInByte = 7268
; NumSgprs: 34
; NumVgprs: 64
; NumAgprs: 0
; TotalNumVgprs: 64
; ScratchSize: 0
; MemoryBound: 0
; FloatMode: 240
; IeeeMode: 1
; LDSByteSize: 0 bytes/workgroup (compile time only)
; SGPRBlocks: 4
; VGPRBlocks: 7
; NumSGPRsForWavesPerEU: 34
; NumVGPRsForWavesPerEU: 64
; AccumOffset: 64
; Occupancy: 8
; WaveLimiterHint : 1
; COMPUTE_PGM_RSRC2:SCRATCH_EN: 0
; COMPUTE_PGM_RSRC2:USER_SGPR: 2
; COMPUTE_PGM_RSRC2:TRAP_HANDLER: 0
; COMPUTE_PGM_RSRC2:TGID_X_EN: 1
; COMPUTE_PGM_RSRC2:TGID_Y_EN: 0
; COMPUTE_PGM_RSRC2:TGID_Z_EN: 0
; COMPUTE_PGM_RSRC2:TIDIG_COMP_CNT: 0
; COMPUTE_PGM_RSRC3_GFX90A:ACCUM_OFFSET: 15
; COMPUTE_PGM_RSRC3_GFX90A:TG_SPLIT: 0
	.text
	.p2alignl 6, 3212836864
	.fill 256, 4, 3212836864
	.type	__hip_cuid_69af336c3d8d95e8,@object ; @__hip_cuid_69af336c3d8d95e8
	.section	.bss,"aw",@nobits
	.globl	__hip_cuid_69af336c3d8d95e8
__hip_cuid_69af336c3d8d95e8:
	.byte	0                               ; 0x0
	.size	__hip_cuid_69af336c3d8d95e8, 1

	.ident	"AMD clang version 19.0.0git (https://github.com/RadeonOpenCompute/llvm-project roc-6.4.0 25133 c7fe45cf4b819c5991fe208aaa96edf142730f1d)"
	.section	".note.GNU-stack","",@progbits
	.addrsig
	.addrsig_sym __hip_cuid_69af336c3d8d95e8
	.amdgpu_metadata
---
amdhsa.kernels:
  - .agpr_count:     0
    .args:
      - .actual_access:  read_only
        .address_space:  global
        .offset:         0
        .size:           8
        .value_kind:     global_buffer
      - .offset:         8
        .size:           8
        .value_kind:     by_value
      - .actual_access:  read_only
        .address_space:  global
        .offset:         16
        .size:           8
        .value_kind:     global_buffer
      - .actual_access:  read_only
        .address_space:  global
        .offset:         24
        .size:           8
        .value_kind:     global_buffer
      - .actual_access:  read_only
        .address_space:  global
        .offset:         32
        .size:           8
        .value_kind:     global_buffer
      - .offset:         40
        .size:           8
        .value_kind:     by_value
      - .actual_access:  read_only
        .address_space:  global
        .offset:         48
        .size:           8
        .value_kind:     global_buffer
      - .actual_access:  read_only
        .address_space:  global
        .offset:         56
        .size:           8
        .value_kind:     global_buffer
      - .offset:         64
        .size:           4
        .value_kind:     by_value
      - .actual_access:  read_only
        .address_space:  global
        .offset:         72
        .size:           8
        .value_kind:     global_buffer
      - .actual_access:  read_only
        .address_space:  global
        .offset:         80
        .size:           8
        .value_kind:     global_buffer
      - .actual_access:  read_only
        .address_space:  global
        .offset:         88
        .size:           8
        .value_kind:     global_buffer
      - .actual_access:  write_only
        .address_space:  global
        .offset:         96
        .size:           8
        .value_kind:     global_buffer
    .group_segment_fixed_size: 0
    .kernarg_segment_align: 8
    .kernarg_segment_size: 104
    .language:       OpenCL C
    .language_version:
      - 2
      - 0
    .max_flat_workgroup_size: 250
    .name:           fft_rtc_fwd_len2500_factors_10_5_10_5_wgs_250_tpt_250_halfLds_sp_op_CI_CI_unitstride_sbrr_C2R_dirReg
    .private_segment_fixed_size: 0
    .sgpr_count:     34
    .sgpr_spill_count: 0
    .symbol:         fft_rtc_fwd_len2500_factors_10_5_10_5_wgs_250_tpt_250_halfLds_sp_op_CI_CI_unitstride_sbrr_C2R_dirReg.kd
    .uniform_work_group_size: 1
    .uses_dynamic_stack: false
    .vgpr_count:     64
    .vgpr_spill_count: 0
    .wavefront_size: 64
amdhsa.target:   amdgcn-amd-amdhsa--gfx950
amdhsa.version:
  - 1
  - 2
...

	.end_amdgpu_metadata
